;; amdgpu-corpus repo=ROCm/rocm-examples kind=compiled arch=gfx1100 opt=O3
	.text
	.amdgcn_target "amdgcn-amd-amdhsa--gfx1100"
	.amdhsa_code_object_version 6
	.section	.text._Z17sobol_init_kernelILj32E19hiprandStateSobol32EvPT0_Pjj,"axG",@progbits,_Z17sobol_init_kernelILj32E19hiprandStateSobol32EvPT0_Pjj,comdat
	.protected	_Z17sobol_init_kernelILj32E19hiprandStateSobol32EvPT0_Pjj ; -- Begin function _Z17sobol_init_kernelILj32E19hiprandStateSobol32EvPT0_Pjj
	.globl	_Z17sobol_init_kernelILj32E19hiprandStateSobol32EvPT0_Pjj
	.p2align	8
	.type	_Z17sobol_init_kernelILj32E19hiprandStateSobol32EvPT0_Pjj,@function
_Z17sobol_init_kernelILj32E19hiprandStateSobol32EvPT0_Pjj: ; @_Z17sobol_init_kernelILj32E19hiprandStateSobol32EvPT0_Pjj
; %bb.0:
	s_clause 0x3
	s_load_b32 s2, s[0:1], 0x24
	s_load_b128 s[4:7], s[0:1], 0x0
	s_load_b32 s3, s[0:1], 0x18
	s_load_b32 s8, s[0:1], 0x10
	s_mov_b32 s1, 0
	s_lshl_b32 s0, s15, 5
	s_delay_alu instid0(SALU_CYCLE_1)
	s_lshl_b64 s[0:1], s[0:1], 2
	s_waitcnt lgkmcnt(0)
	s_and_b32 s2, s2, 0xffff
	s_add_u32 s0, s6, s0
	s_addc_u32 s1, s7, s1
	v_mad_u64_u32 v[2:3], null, s14, s2, v[0:1]
	s_clause 0x1
	s_load_b512 s[16:31], s[0:1], 0x40
	s_load_b512 s[36:51], s[0:1], 0x0
	s_mul_i32 s3, s3, s15
	s_delay_alu instid0(VALU_DEP_1) | instskip(NEXT) | instid1(VALU_DEP_2)
	v_add_nc_u32_e32 v1, s8, v2
	v_mad_u64_u32 v[3:4], null, s3, s2, v[2:3]
	s_delay_alu instid0(VALU_DEP_2) | instskip(NEXT) | instid1(VALU_DEP_2)
	v_ashrrev_i32_e32 v2, 31, v1
	v_mad_u64_u32 v[32:33], null, 0x88, v3, s[4:5]
	s_waitcnt lgkmcnt(0)
	s_delay_alu instid0(VALU_DEP_2) | instskip(SKIP_4) | instid1(VALU_DEP_3)
	v_dual_mov_b32 v3, s37 :: v_dual_and_b32 v28, s31, v2
	v_mov_b32_e32 v2, s36
	v_lshrrev_b32_e32 v0, 1, v1
	v_dual_mov_b32 v8, s42 :: v_dual_mov_b32 v9, s43
	v_dual_mov_b32 v10, s44 :: v_dual_mov_b32 v11, s45
	v_xor_b32_e32 v0, v0, v1
	v_dual_mov_b32 v12, s46 :: v_dual_mov_b32 v13, s47
	v_dual_mov_b32 v14, s48 :: v_dual_mov_b32 v15, s49
	s_delay_alu instid0(VALU_DEP_3)
	v_bfe_i32 v20, v0, 0, 1
	v_bfe_i32 v21, v0, 1, 1
	;; [unrolled: 1-line block ×5, first 2 shown]
	v_and_b32_e32 v20, s36, v20
	v_and_b32_e32 v21, s37, v21
	v_bfe_i32 v25, v0, 5, 1
	v_and_b32_e32 v22, s38, v22
	v_and_b32_e32 v23, s39, v23
	v_bfe_i32 v26, v0, 7, 1
	v_xor_b32_e32 v20, v21, v20
	v_bfe_i32 v21, v0, 6, 1
	v_and_b32_e32 v24, s40, v24
	v_and_b32_e32 v25, s41, v25
	v_dual_mov_b32 v27, s25 :: v_dual_and_b32 v26, s43, v26
	v_xor3_b32 v20, v20, v22, v23
	v_bfe_i32 v22, v0, 8, 1
	v_bfe_i32 v23, v0, 9, 1
	v_dual_mov_b32 v16, s50 :: v_dual_and_b32 v21, s42, v21
	v_mov_b32_e32 v17, s51
	v_xor3_b32 v20, v20, v24, v25
	v_bfe_i32 v24, v0, 10, 1
	v_bfe_i32 v25, v0, 11, 1
	v_and_b32_e32 v22, s44, v22
	v_and_b32_e32 v23, s45, v23
	v_xor3_b32 v20, v20, v21, v26
	v_bfe_i32 v21, v0, 12, 1
	v_bfe_i32 v26, v0, 13, 1
	v_dual_mov_b32 v31, s29 :: v_dual_and_b32 v24, s46, v24
	v_dual_mov_b32 v30, s28 :: v_dual_and_b32 v25, s47, v25
	v_xor3_b32 v20, v20, v22, v23
	v_bfe_i32 v22, v0, 14, 1
	v_bfe_i32 v23, v0, 15, 1
	v_and_b32_e32 v21, s48, v21
	v_and_b32_e32 v26, s49, v26
	v_xor3_b32 v20, v20, v24, v25
	v_bfe_i32 v24, v0, 16, 1
	v_bfe_i32 v25, v0, 17, 1
	v_and_b32_e32 v22, s50, v22
	v_and_b32_e32 v23, s51, v23
	;; [unrolled: 5-line block ×8, first 2 shown]
	v_xor3_b32 v21, v20, v21, v26
	v_bfe_i32 v0, v0, 30, 1
	v_and_b32_e32 v24, s28, v24
	v_dual_mov_b32 v18, s16 :: v_dual_and_b32 v25, s29, v25
	v_mov_b32_e32 v19, s17
	v_xor3_b32 v26, v21, v22, v23
	v_and_b32_e32 v0, s30, v0
	v_dual_mov_b32 v20, s18 :: v_dual_mov_b32 v21, s19
	v_mov_b32_e32 v22, s20
	s_delay_alu instid0(VALU_DEP_4) | instskip(SKIP_3) | instid1(VALU_DEP_4)
	v_xor3_b32 v29, v26, v24, v25
	v_dual_mov_b32 v23, s21 :: v_dual_mov_b32 v4, s38
	v_dual_mov_b32 v5, s39 :: v_dual_mov_b32 v6, s40
	v_mov_b32_e32 v7, s41
	v_xor3_b32 v0, v29, v0, v28
	v_dual_mov_b32 v24, s22 :: v_dual_mov_b32 v25, s23
	v_mov_b32_e32 v26, s24
	v_dual_mov_b32 v28, s26 :: v_dual_mov_b32 v29, s27
	s_clause 0x3
	global_store_b128 v[32:33], v[8:11], off offset:32
	global_store_b128 v[32:33], v[12:15], off offset:48
	global_store_b128 v[32:33], v[0:3], off
	global_store_b128 v[32:33], v[4:7], off offset:16
	v_dual_mov_b32 v0, s30 :: v_dual_mov_b32 v1, s31
	s_clause 0x4
	global_store_b128 v[32:33], v[16:19], off offset:64
	global_store_b128 v[32:33], v[20:23], off offset:80
	;; [unrolled: 1-line block ×4, first 2 shown]
	global_store_b64 v[32:33], v[0:1], off offset:128
	s_nop 0
	s_sendmsg sendmsg(MSG_DEALLOC_VGPRS)
	s_endpgm
	.section	.rodata,"a",@progbits
	.p2align	6, 0x0
	.amdhsa_kernel _Z17sobol_init_kernelILj32E19hiprandStateSobol32EvPT0_Pjj
		.amdhsa_group_segment_fixed_size 0
		.amdhsa_private_segment_fixed_size 0
		.amdhsa_kernarg_size 280
		.amdhsa_user_sgpr_count 14
		.amdhsa_user_sgpr_dispatch_ptr 0
		.amdhsa_user_sgpr_queue_ptr 0
		.amdhsa_user_sgpr_kernarg_segment_ptr 1
		.amdhsa_user_sgpr_dispatch_id 0
		.amdhsa_user_sgpr_private_segment_size 0
		.amdhsa_wavefront_size32 1
		.amdhsa_uses_dynamic_stack 0
		.amdhsa_enable_private_segment 0
		.amdhsa_system_sgpr_workgroup_id_x 1
		.amdhsa_system_sgpr_workgroup_id_y 1
		.amdhsa_system_sgpr_workgroup_id_z 0
		.amdhsa_system_sgpr_workgroup_info 0
		.amdhsa_system_vgpr_workitem_id 0
		.amdhsa_next_free_vgpr 34
		.amdhsa_next_free_sgpr 52
		.amdhsa_reserve_vcc 0
		.amdhsa_float_round_mode_32 0
		.amdhsa_float_round_mode_16_64 0
		.amdhsa_float_denorm_mode_32 3
		.amdhsa_float_denorm_mode_16_64 3
		.amdhsa_dx10_clamp 1
		.amdhsa_ieee_mode 1
		.amdhsa_fp16_overflow 0
		.amdhsa_workgroup_processor_mode 1
		.amdhsa_memory_ordered 1
		.amdhsa_forward_progress 0
		.amdhsa_shared_vgpr_count 0
		.amdhsa_exception_fp_ieee_invalid_op 0
		.amdhsa_exception_fp_denorm_src 0
		.amdhsa_exception_fp_ieee_div_zero 0
		.amdhsa_exception_fp_ieee_overflow 0
		.amdhsa_exception_fp_ieee_underflow 0
		.amdhsa_exception_fp_ieee_inexact 0
		.amdhsa_exception_int_div_zero 0
	.end_amdhsa_kernel
	.section	.text._Z17sobol_init_kernelILj32E19hiprandStateSobol32EvPT0_Pjj,"axG",@progbits,_Z17sobol_init_kernelILj32E19hiprandStateSobol32EvPT0_Pjj,comdat
.Lfunc_end0:
	.size	_Z17sobol_init_kernelILj32E19hiprandStateSobol32EvPT0_Pjj, .Lfunc_end0-_Z17sobol_init_kernelILj32E19hiprandStateSobol32EvPT0_Pjj
                                        ; -- End function
	.section	.AMDGPU.csdata,"",@progbits
; Kernel info:
; codeLenInByte = 884
; NumSgprs: 52
; NumVgprs: 34
; ScratchSize: 0
; MemoryBound: 0
; FloatMode: 240
; IeeeMode: 1
; LDSByteSize: 0 bytes/workgroup (compile time only)
; SGPRBlocks: 6
; VGPRBlocks: 4
; NumSGPRsForWavesPerEU: 52
; NumVGPRsForWavesPerEU: 34
; Occupancy: 16
; WaveLimiterHint : 0
; COMPUTE_PGM_RSRC2:SCRATCH_EN: 0
; COMPUTE_PGM_RSRC2:USER_SGPR: 14
; COMPUTE_PGM_RSRC2:TRAP_HANDLER: 0
; COMPUTE_PGM_RSRC2:TGID_X_EN: 1
; COMPUTE_PGM_RSRC2:TGID_Y_EN: 1
; COMPUTE_PGM_RSRC2:TGID_Z_EN: 0
; COMPUTE_PGM_RSRC2:TIDIG_COMP_CNT: 0
	.section	.text._Z15generate_kernelI19hiprandStateSobol32EvPT_Pjm,"axG",@progbits,_Z15generate_kernelI19hiprandStateSobol32EvPT_Pjm,comdat
	.protected	_Z15generate_kernelI19hiprandStateSobol32EvPT_Pjm ; -- Begin function _Z15generate_kernelI19hiprandStateSobol32EvPT_Pjm
	.globl	_Z15generate_kernelI19hiprandStateSobol32EvPT_Pjm
	.p2align	8
	.type	_Z15generate_kernelI19hiprandStateSobol32EvPT_Pjm,@function
_Z15generate_kernelI19hiprandStateSobol32EvPT_Pjm: ; @_Z15generate_kernelI19hiprandStateSobol32EvPT_Pjm
; %bb.0:
	s_clause 0x3
	s_load_b32 s2, s[0:1], 0x24
	s_load_b32 s3, s[0:1], 0x18
	s_load_b128 s[4:7], s[0:1], 0x0
	s_load_b64 s[0:1], s[0:1], 0x10
	s_waitcnt lgkmcnt(0)
	s_and_b32 s8, s2, 0xffff
	s_delay_alu instid0(SALU_CYCLE_1)
	v_mad_u64_u32 v[1:2], null, s14, s8, v[0:1]
	s_mul_i32 s2, s3, s8
	s_delay_alu instid0(VALU_DEP_1) | instid1(SALU_CYCLE_1)
	v_mad_u64_u32 v[2:3], null, s2, s15, v[1:2]
	s_delay_alu instid0(VALU_DEP_1)
	v_mad_u64_u32 v[35:36], null, 0x88, v2, s[4:5]
	v_mov_b32_e32 v2, 0
	s_mov_b32 s4, exec_lo
	s_clause 0x8
	global_load_b128 v[3:6], v[35:36], off
	global_load_b128 v[7:10], v[35:36], off offset:16
	global_load_b128 v[11:14], v[35:36], off offset:32
	;; [unrolled: 1-line block ×7, first 2 shown]
	global_load_b64 v[35:36], v[35:36], off offset:128
	s_waitcnt vmcnt(8)
	scratch_store_b128 off, v[3:6], off
	s_waitcnt vmcnt(7)
	scratch_store_b128 off, v[7:10], off offset:16
	s_waitcnt vmcnt(6)
	scratch_store_b128 off, v[11:14], off offset:32
	;; [unrolled: 2-line block ×7, first 2 shown]
	s_waitcnt vmcnt(0)
	scratch_store_b64 off, v[35:36], off offset:128
	v_cmpx_gt_u64_e64 s[0:1], v[1:2]
	s_cbranch_execz .LBB1_3
; %bb.1:
	scratch_load_b64 v[3:4], off, off
	s_mul_i32 s5, s15, s1
	s_mul_hi_u32 s9, s15, s0
	s_mul_i32 s4, s15, s0
	s_add_i32 s5, s9, s5
	v_dual_mov_b32 v6, v2 :: v_dual_mov_b32 v5, v1
	s_lshl_b64 s[4:5], s[4:5], 2
	s_delay_alu instid0(SALU_CYCLE_1)
	s_add_u32 s4, s6, s4
	s_addc_u32 s5, s7, s5
	s_add_i32 s14, s14, s3
	s_mov_b32 s3, 0
	v_mad_u64_u32 v[7:8], null, s14, s8, v[0:1]
	v_add_nc_u32_e64 v0, 0, 8
	s_delay_alu instid0(VALU_DEP_2)
	v_mov_b32_e32 v1, v7
	s_waitcnt vmcnt(0)
	v_not_b32_e32 v4, v4
	.p2align	6
.LBB1_2:                                ; =>This Inner Loop Header: Depth=1
	s_delay_alu instid0(VALU_DEP_1) | instskip(SKIP_1) | instid1(VALU_DEP_2)
	v_ctz_i32_b32_e32 v7, v4
	v_cmp_ne_u32_e32 vcc_lo, 0, v4
	v_dual_cndmask_b32 v7, 0, v7 :: v_dual_add_nc_u32 v4, -1, v4
	s_delay_alu instid0(VALU_DEP_1) | instskip(SKIP_3) | instid1(VALU_DEP_2)
	v_lshl_add_u32 v7, v7, 2, v0
	scratch_load_b32 v9, v7, off
	v_lshlrev_b64 v[7:8], 2, v[5:6]
	v_dual_mov_b32 v6, v2 :: v_dual_mov_b32 v5, v1
	v_add_co_u32 v7, vcc_lo, s4, v7
	s_delay_alu instid0(VALU_DEP_3)
	v_add_co_ci_u32_e32 v8, vcc_lo, s5, v8, vcc_lo
	v_cmp_le_u64_e32 vcc_lo, s[0:1], v[1:2]
	v_add_nc_u32_e32 v1, s2, v1
	global_store_b32 v[7:8], v3, off
	s_or_b32 s3, vcc_lo, s3
	s_waitcnt vmcnt(0)
	v_xor_b32_e32 v9, v9, v3
	s_delay_alu instid0(VALU_DEP_1)
	v_mov_b32_e32 v3, v9
	s_and_not1_b32 exec_lo, exec_lo, s3
	s_cbranch_execnz .LBB1_2
.LBB1_3:
	s_endpgm
	.section	.rodata,"a",@progbits
	.p2align	6, 0x0
	.amdhsa_kernel _Z15generate_kernelI19hiprandStateSobol32EvPT_Pjm
		.amdhsa_group_segment_fixed_size 0
		.amdhsa_private_segment_fixed_size 140
		.amdhsa_kernarg_size 280
		.amdhsa_user_sgpr_count 14
		.amdhsa_user_sgpr_dispatch_ptr 0
		.amdhsa_user_sgpr_queue_ptr 0
		.amdhsa_user_sgpr_kernarg_segment_ptr 1
		.amdhsa_user_sgpr_dispatch_id 0
		.amdhsa_user_sgpr_private_segment_size 0
		.amdhsa_wavefront_size32 1
		.amdhsa_uses_dynamic_stack 0
		.amdhsa_enable_private_segment 1
		.amdhsa_system_sgpr_workgroup_id_x 1
		.amdhsa_system_sgpr_workgroup_id_y 1
		.amdhsa_system_sgpr_workgroup_id_z 0
		.amdhsa_system_sgpr_workgroup_info 0
		.amdhsa_system_vgpr_workitem_id 0
		.amdhsa_next_free_vgpr 37
		.amdhsa_next_free_sgpr 16
		.amdhsa_reserve_vcc 1
		.amdhsa_float_round_mode_32 0
		.amdhsa_float_round_mode_16_64 0
		.amdhsa_float_denorm_mode_32 3
		.amdhsa_float_denorm_mode_16_64 3
		.amdhsa_dx10_clamp 1
		.amdhsa_ieee_mode 1
		.amdhsa_fp16_overflow 0
		.amdhsa_workgroup_processor_mode 1
		.amdhsa_memory_ordered 1
		.amdhsa_forward_progress 0
		.amdhsa_shared_vgpr_count 0
		.amdhsa_exception_fp_ieee_invalid_op 0
		.amdhsa_exception_fp_denorm_src 0
		.amdhsa_exception_fp_ieee_div_zero 0
		.amdhsa_exception_fp_ieee_overflow 0
		.amdhsa_exception_fp_ieee_underflow 0
		.amdhsa_exception_fp_ieee_inexact 0
		.amdhsa_exception_int_div_zero 0
	.end_amdhsa_kernel
	.section	.text._Z15generate_kernelI19hiprandStateSobol32EvPT_Pjm,"axG",@progbits,_Z15generate_kernelI19hiprandStateSobol32EvPT_Pjm,comdat
.Lfunc_end1:
	.size	_Z15generate_kernelI19hiprandStateSobol32EvPT_Pjm, .Lfunc_end1-_Z15generate_kernelI19hiprandStateSobol32EvPT_Pjm
                                        ; -- End function
	.section	.AMDGPU.csdata,"",@progbits
; Kernel info:
; codeLenInByte = 504
; NumSgprs: 18
; NumVgprs: 37
; ScratchSize: 140
; MemoryBound: 0
; FloatMode: 240
; IeeeMode: 1
; LDSByteSize: 0 bytes/workgroup (compile time only)
; SGPRBlocks: 2
; VGPRBlocks: 4
; NumSGPRsForWavesPerEU: 18
; NumVGPRsForWavesPerEU: 37
; Occupancy: 16
; WaveLimiterHint : 0
; COMPUTE_PGM_RSRC2:SCRATCH_EN: 1
; COMPUTE_PGM_RSRC2:USER_SGPR: 14
; COMPUTE_PGM_RSRC2:TRAP_HANDLER: 0
; COMPUTE_PGM_RSRC2:TGID_X_EN: 1
; COMPUTE_PGM_RSRC2:TGID_Y_EN: 1
; COMPUTE_PGM_RSRC2:TGID_Z_EN: 0
; COMPUTE_PGM_RSRC2:TIDIG_COMP_CNT: 0
	.section	.text._Z27scrambled_sobol_init_kernelILj32E28hiprandStateScrambledSobol32EvPT0_PjS3_j,"axG",@progbits,_Z27scrambled_sobol_init_kernelILj32E28hiprandStateScrambledSobol32EvPT0_PjS3_j,comdat
	.protected	_Z27scrambled_sobol_init_kernelILj32E28hiprandStateScrambledSobol32EvPT0_PjS3_j ; -- Begin function _Z27scrambled_sobol_init_kernelILj32E28hiprandStateScrambledSobol32EvPT0_PjS3_j
	.globl	_Z27scrambled_sobol_init_kernelILj32E28hiprandStateScrambledSobol32EvPT0_PjS3_j
	.p2align	8
	.type	_Z27scrambled_sobol_init_kernelILj32E28hiprandStateScrambledSobol32EvPT0_PjS3_j,@function
_Z27scrambled_sobol_init_kernelILj32E28hiprandStateScrambledSobol32EvPT0_PjS3_j: ; @_Z27scrambled_sobol_init_kernelILj32E28hiprandStateScrambledSobol32EvPT0_PjS3_j
; %bb.0:
	s_clause 0x3
	s_load_b32 s2, s[0:1], 0x2c
	s_load_b128 s[36:39], s[0:1], 0x0
	s_load_b32 s33, s[0:1], 0x20
	s_load_b32 s44, s[0:1], 0x18
	s_mov_b32 s43, 0
	s_lshl_b32 s42, s15, 5
	s_load_b64 s[40:41], s[0:1], 0x10
	s_lshl_b64 s[0:1], s[42:43], 2
	s_mov_b32 s34, s15
	s_mov_b32 s35, s43
	s_waitcnt lgkmcnt(0)
	s_and_b32 s42, s2, 0xffff
	s_add_u32 s16, s38, s0
	s_addc_u32 s17, s39, s1
	v_mad_u64_u32 v[2:3], null, s14, s42, v[0:1]
	s_clause 0x1
	s_load_b512 s[0:15], s[16:17], 0x40
	s_load_b512 s[16:31], s[16:17], 0x0
	s_mul_i32 s33, s33, s34
	s_lshl_b64 s[34:35], s[34:35], 2
	s_delay_alu instid0(SALU_CYCLE_1) | instskip(SKIP_4) | instid1(VALU_DEP_2)
	s_add_u32 s34, s40, s34
	s_addc_u32 s35, s41, s35
	v_add_nc_u32_e32 v1, s44, v2
	v_mad_u64_u32 v[3:4], null, s33, s42, v[2:3]
	s_load_b32 s33, s[34:35], 0x0
	v_ashrrev_i32_e32 v2, 31, v1
	s_delay_alu instid0(VALU_DEP_2) | instskip(SKIP_1) | instid1(VALU_DEP_2)
	v_mad_u64_u32 v[24:25], null, 0x8c, v3, s[36:37]
	s_waitcnt lgkmcnt(0)
	v_dual_mov_b32 v3, s17 :: v_dual_and_b32 v22, s15, v2
	v_mov_b32_e32 v2, s16
	v_lshrrev_b32_e32 v0, 1, v1
	v_dual_mov_b32 v8, s22 :: v_dual_mov_b32 v9, s23
	v_dual_mov_b32 v10, s24 :: v_dual_mov_b32 v11, s25
	s_delay_alu instid0(VALU_DEP_3) | instskip(SKIP_2) | instid1(VALU_DEP_3)
	v_xor_b32_e32 v0, v0, v1
	v_dual_mov_b32 v12, s26 :: v_dual_mov_b32 v13, s27
	v_dual_mov_b32 v4, s18 :: v_dual_mov_b32 v5, s19
	v_bfe_i32 v14, v0, 0, 1
	v_bfe_i32 v15, v0, 1, 1
	;; [unrolled: 1-line block ×5, first 2 shown]
	v_and_b32_e32 v14, s16, v14
	v_and_b32_e32 v15, s17, v15
	v_bfe_i32 v19, v0, 5, 1
	v_and_b32_e32 v16, s18, v16
	v_and_b32_e32 v17, s19, v17
	v_bfe_i32 v20, v0, 7, 1
	v_xor_b32_e32 v14, v15, v14
	v_bfe_i32 v15, v0, 6, 1
	v_and_b32_e32 v18, s20, v18
	v_and_b32_e32 v19, s21, v19
	v_dual_mov_b32 v21, s3 :: v_dual_and_b32 v20, s23, v20
	v_xor3_b32 v14, v14, v16, v17
	v_bfe_i32 v16, v0, 8, 1
	v_bfe_i32 v17, v0, 9, 1
	v_dual_mov_b32 v6, s20 :: v_dual_and_b32 v15, s22, v15
	v_mov_b32_e32 v7, s21
	v_xor3_b32 v14, v14, v18, v19
	v_bfe_i32 v18, v0, 10, 1
	v_bfe_i32 v19, v0, 11, 1
	v_and_b32_e32 v16, s24, v16
	v_and_b32_e32 v17, s25, v17
	v_xor3_b32 v14, v14, v15, v20
	v_bfe_i32 v15, v0, 12, 1
	v_bfe_i32 v20, v0, 13, 1
	v_and_b32_e32 v18, s26, v18
	v_and_b32_e32 v19, s27, v19
	;; [unrolled: 5-line block ×10, first 2 shown]
	v_xor3_b32 v15, v14, v15, v20
	v_bfe_i32 v0, v0, 30, 1
	v_and_b32_e32 v18, s12, v18
	v_dual_mov_b32 v14, s28 :: v_dual_and_b32 v19, s13, v19
	s_delay_alu instid0(VALU_DEP_4) | instskip(NEXT) | instid1(VALU_DEP_4)
	v_xor3_b32 v20, v15, v16, v17
	v_dual_mov_b32 v15, s29 :: v_dual_and_b32 v0, s14, v0
	v_dual_mov_b32 v16, s30 :: v_dual_mov_b32 v17, s31
	s_delay_alu instid0(VALU_DEP_3) | instskip(SKIP_2) | instid1(VALU_DEP_3)
	v_xor3_b32 v23, v20, v18, v19
	v_dual_mov_b32 v18, s0 :: v_dual_mov_b32 v19, s1
	v_mov_b32_e32 v20, s2
	v_xor3_b32 v0, v23, v0, v22
	v_dual_mov_b32 v22, s4 :: v_dual_mov_b32 v23, s5
	s_clause 0x3
	global_store_b128 v[24:25], v[8:11], off offset:32
	global_store_b128 v[24:25], v[12:15], off offset:48
	global_store_b128 v[24:25], v[0:3], off
	global_store_b128 v[24:25], v[4:7], off offset:16
	v_mov_b32_e32 v10, s33
	v_dual_mov_b32 v0, s6 :: v_dual_mov_b32 v1, s7
	v_dual_mov_b32 v2, s8 :: v_dual_mov_b32 v3, s9
	;; [unrolled: 1-line block ×5, first 2 shown]
	s_clause 0x4
	global_store_b128 v[24:25], v[16:19], off offset:64
	global_store_b128 v[24:25], v[20:23], off offset:80
	global_store_b128 v[24:25], v[0:3], off offset:96
	global_store_b128 v[24:25], v[4:7], off offset:112
	global_store_b96 v[24:25], v[8:10], off offset:128
	s_nop 0
	s_sendmsg sendmsg(MSG_DEALLOC_VGPRS)
	s_endpgm
	.section	.rodata,"a",@progbits
	.p2align	6, 0x0
	.amdhsa_kernel _Z27scrambled_sobol_init_kernelILj32E28hiprandStateScrambledSobol32EvPT0_PjS3_j
		.amdhsa_group_segment_fixed_size 0
		.amdhsa_private_segment_fixed_size 0
		.amdhsa_kernarg_size 288
		.amdhsa_user_sgpr_count 14
		.amdhsa_user_sgpr_dispatch_ptr 0
		.amdhsa_user_sgpr_queue_ptr 0
		.amdhsa_user_sgpr_kernarg_segment_ptr 1
		.amdhsa_user_sgpr_dispatch_id 0
		.amdhsa_user_sgpr_private_segment_size 0
		.amdhsa_wavefront_size32 1
		.amdhsa_uses_dynamic_stack 0
		.amdhsa_enable_private_segment 0
		.amdhsa_system_sgpr_workgroup_id_x 1
		.amdhsa_system_sgpr_workgroup_id_y 1
		.amdhsa_system_sgpr_workgroup_id_z 0
		.amdhsa_system_sgpr_workgroup_info 0
		.amdhsa_system_vgpr_workitem_id 0
		.amdhsa_next_free_vgpr 26
		.amdhsa_next_free_sgpr 45
		.amdhsa_reserve_vcc 0
		.amdhsa_float_round_mode_32 0
		.amdhsa_float_round_mode_16_64 0
		.amdhsa_float_denorm_mode_32 3
		.amdhsa_float_denorm_mode_16_64 3
		.amdhsa_dx10_clamp 1
		.amdhsa_ieee_mode 1
		.amdhsa_fp16_overflow 0
		.amdhsa_workgroup_processor_mode 1
		.amdhsa_memory_ordered 1
		.amdhsa_forward_progress 0
		.amdhsa_shared_vgpr_count 0
		.amdhsa_exception_fp_ieee_invalid_op 0
		.amdhsa_exception_fp_denorm_src 0
		.amdhsa_exception_fp_ieee_div_zero 0
		.amdhsa_exception_fp_ieee_overflow 0
		.amdhsa_exception_fp_ieee_underflow 0
		.amdhsa_exception_fp_ieee_inexact 0
		.amdhsa_exception_int_div_zero 0
	.end_amdhsa_kernel
	.section	.text._Z27scrambled_sobol_init_kernelILj32E28hiprandStateScrambledSobol32EvPT0_PjS3_j,"axG",@progbits,_Z27scrambled_sobol_init_kernelILj32E28hiprandStateScrambledSobol32EvPT0_PjS3_j,comdat
.Lfunc_end2:
	.size	_Z27scrambled_sobol_init_kernelILj32E28hiprandStateScrambledSobol32EvPT0_PjS3_j, .Lfunc_end2-_Z27scrambled_sobol_init_kernelILj32E28hiprandStateScrambledSobol32EvPT0_PjS3_j
                                        ; -- End function
	.section	.AMDGPU.csdata,"",@progbits
; Kernel info:
; codeLenInByte = 920
; NumSgprs: 45
; NumVgprs: 26
; ScratchSize: 0
; MemoryBound: 0
; FloatMode: 240
; IeeeMode: 1
; LDSByteSize: 0 bytes/workgroup (compile time only)
; SGPRBlocks: 5
; VGPRBlocks: 3
; NumSGPRsForWavesPerEU: 45
; NumVGPRsForWavesPerEU: 26
; Occupancy: 16
; WaveLimiterHint : 0
; COMPUTE_PGM_RSRC2:SCRATCH_EN: 0
; COMPUTE_PGM_RSRC2:USER_SGPR: 14
; COMPUTE_PGM_RSRC2:TRAP_HANDLER: 0
; COMPUTE_PGM_RSRC2:TGID_X_EN: 1
; COMPUTE_PGM_RSRC2:TGID_Y_EN: 1
; COMPUTE_PGM_RSRC2:TGID_Z_EN: 0
; COMPUTE_PGM_RSRC2:TIDIG_COMP_CNT: 0
	.section	.text._Z15generate_kernelI28hiprandStateScrambledSobol32EvPT_Pjm,"axG",@progbits,_Z15generate_kernelI28hiprandStateScrambledSobol32EvPT_Pjm,comdat
	.protected	_Z15generate_kernelI28hiprandStateScrambledSobol32EvPT_Pjm ; -- Begin function _Z15generate_kernelI28hiprandStateScrambledSobol32EvPT_Pjm
	.globl	_Z15generate_kernelI28hiprandStateScrambledSobol32EvPT_Pjm
	.p2align	8
	.type	_Z15generate_kernelI28hiprandStateScrambledSobol32EvPT_Pjm,@function
_Z15generate_kernelI28hiprandStateScrambledSobol32EvPT_Pjm: ; @_Z15generate_kernelI28hiprandStateScrambledSobol32EvPT_Pjm
; %bb.0:
	s_clause 0x2
	s_load_b32 s2, s[0:1], 0x24
	s_load_b32 s9, s[0:1], 0x18
	s_load_b128 s[4:7], s[0:1], 0x0
	s_waitcnt lgkmcnt(0)
	s_and_b32 s10, s2, 0xffff
	s_load_b64 s[2:3], s[0:1], 0x10
	v_mad_u64_u32 v[1:2], null, s14, s10, v[0:1]
	s_mul_i32 s8, s9, s10
	s_mov_b32 s0, exec_lo
	s_delay_alu instid0(VALU_DEP_1) | instskip(NEXT) | instid1(VALU_DEP_1)
	v_mad_u64_u32 v[2:3], null, s8, s15, v[1:2]
	v_mad_u64_u32 v[35:36], null, 0x8c, v2, s[4:5]
	v_mov_b32_e32 v2, 0
	s_clause 0x8
	global_load_b128 v[3:6], v[35:36], off
	global_load_b128 v[7:10], v[35:36], off offset:16
	global_load_b128 v[11:14], v[35:36], off offset:32
	;; [unrolled: 1-line block ×7, first 2 shown]
	global_load_b96 v[35:37], v[35:36], off offset:128
	s_waitcnt vmcnt(8)
	scratch_store_b128 off, v[3:6], off
	s_waitcnt vmcnt(7)
	scratch_store_b128 off, v[7:10], off offset:16
	s_waitcnt vmcnt(6)
	scratch_store_b128 off, v[11:14], off offset:32
	s_waitcnt vmcnt(5)
	scratch_store_b128 off, v[15:18], off offset:48
	s_waitcnt vmcnt(4)
	scratch_store_b128 off, v[19:22], off offset:64
	s_waitcnt vmcnt(3)
	scratch_store_b128 off, v[23:26], off offset:80
	s_waitcnt vmcnt(2)
	scratch_store_b128 off, v[27:30], off offset:96
	s_waitcnt vmcnt(1)
	scratch_store_b128 off, v[31:34], off offset:112
	s_waitcnt vmcnt(0)
	s_clause 0x1
	scratch_store_b32 off, v35, off offset:128
	scratch_store_b64 off, v[36:37], off offset:132
	s_waitcnt lgkmcnt(0)
	v_cmpx_gt_u64_e64 s[2:3], v[1:2]
	s_cbranch_execz .LBB3_3
; %bb.1:
	s_clause 0x1
	scratch_load_b64 v[3:4], off, off
	scratch_load_b32 v7, off, off offset:136
	s_mul_i32 s1, s15, s3
	s_mul_hi_u32 s4, s15, s2
	s_mul_i32 s0, s15, s2
	s_add_i32 s1, s4, s1
	v_dual_mov_b32 v6, v2 :: v_dual_mov_b32 v5, v1
	s_lshl_b64 s[4:5], s[0:1], 2
	s_delay_alu instid0(SALU_CYCLE_1)
	s_add_u32 s1, s6, s4
	s_addc_u32 s4, s7, s5
	s_add_i32 s14, s14, s9
	s_mov_b32 s5, 0
	v_mad_u64_u32 v[8:9], null, s14, s10, v[0:1]
	v_add_nc_u32_e64 v0, 0, 8
	s_delay_alu instid0(VALU_DEP_2)
	v_mov_b32_e32 v1, v8
	s_waitcnt vmcnt(1)
	v_not_b32_e32 v4, v4
	.p2align	6
.LBB3_2:                                ; =>This Inner Loop Header: Depth=1
	s_delay_alu instid0(VALU_DEP_1)
	v_ctz_i32_b32_e32 v8, v4
	v_cmp_ne_u32_e32 vcc_lo, 0, v4
	s_waitcnt vmcnt(0)
	v_xor_b32_e32 v11, v7, v3
	v_add_nc_u32_e32 v4, -1, v4
	v_cndmask_b32_e32 v8, 0, v8, vcc_lo
	v_cmp_le_u64_e32 vcc_lo, s[2:3], v[1:2]
	s_delay_alu instid0(VALU_DEP_2)
	v_lshl_add_u32 v8, v8, 2, v0
	s_or_b32 s5, vcc_lo, s5
	scratch_load_b32 v10, v8, off
	v_lshlrev_b64 v[8:9], 2, v[5:6]
	v_dual_mov_b32 v6, v2 :: v_dual_mov_b32 v5, v1
	v_add_nc_u32_e32 v1, s8, v1
	s_delay_alu instid0(VALU_DEP_3) | instskip(NEXT) | instid1(VALU_DEP_1)
	v_add_co_u32 v8, s0, s1, v8
	v_add_co_ci_u32_e64 v9, s0, s4, v9, s0
	global_store_b32 v[8:9], v11, off
	s_waitcnt vmcnt(0)
	v_xor_b32_e32 v3, v10, v3
	s_and_not1_b32 exec_lo, exec_lo, s5
	s_cbranch_execnz .LBB3_2
.LBB3_3:
	s_endpgm
	.section	.rodata,"a",@progbits
	.p2align	6, 0x0
	.amdhsa_kernel _Z15generate_kernelI28hiprandStateScrambledSobol32EvPT_Pjm
		.amdhsa_group_segment_fixed_size 0
		.amdhsa_private_segment_fixed_size 144
		.amdhsa_kernarg_size 280
		.amdhsa_user_sgpr_count 14
		.amdhsa_user_sgpr_dispatch_ptr 0
		.amdhsa_user_sgpr_queue_ptr 0
		.amdhsa_user_sgpr_kernarg_segment_ptr 1
		.amdhsa_user_sgpr_dispatch_id 0
		.amdhsa_user_sgpr_private_segment_size 0
		.amdhsa_wavefront_size32 1
		.amdhsa_uses_dynamic_stack 0
		.amdhsa_enable_private_segment 1
		.amdhsa_system_sgpr_workgroup_id_x 1
		.amdhsa_system_sgpr_workgroup_id_y 1
		.amdhsa_system_sgpr_workgroup_id_z 0
		.amdhsa_system_sgpr_workgroup_info 0
		.amdhsa_system_vgpr_workitem_id 0
		.amdhsa_next_free_vgpr 38
		.amdhsa_next_free_sgpr 16
		.amdhsa_reserve_vcc 1
		.amdhsa_float_round_mode_32 0
		.amdhsa_float_round_mode_16_64 0
		.amdhsa_float_denorm_mode_32 3
		.amdhsa_float_denorm_mode_16_64 3
		.amdhsa_dx10_clamp 1
		.amdhsa_ieee_mode 1
		.amdhsa_fp16_overflow 0
		.amdhsa_workgroup_processor_mode 1
		.amdhsa_memory_ordered 1
		.amdhsa_forward_progress 0
		.amdhsa_shared_vgpr_count 0
		.amdhsa_exception_fp_ieee_invalid_op 0
		.amdhsa_exception_fp_denorm_src 0
		.amdhsa_exception_fp_ieee_div_zero 0
		.amdhsa_exception_fp_ieee_overflow 0
		.amdhsa_exception_fp_ieee_underflow 0
		.amdhsa_exception_fp_ieee_inexact 0
		.amdhsa_exception_int_div_zero 0
	.end_amdhsa_kernel
	.section	.text._Z15generate_kernelI28hiprandStateScrambledSobol32EvPT_Pjm,"axG",@progbits,_Z15generate_kernelI28hiprandStateScrambledSobol32EvPT_Pjm,comdat
.Lfunc_end3:
	.size	_Z15generate_kernelI28hiprandStateScrambledSobol32EvPT_Pjm, .Lfunc_end3-_Z15generate_kernelI28hiprandStateScrambledSobol32EvPT_Pjm
                                        ; -- End function
	.section	.AMDGPU.csdata,"",@progbits
; Kernel info:
; codeLenInByte = 528
; NumSgprs: 18
; NumVgprs: 38
; ScratchSize: 144
; MemoryBound: 0
; FloatMode: 240
; IeeeMode: 1
; LDSByteSize: 0 bytes/workgroup (compile time only)
; SGPRBlocks: 2
; VGPRBlocks: 4
; NumSGPRsForWavesPerEU: 18
; NumVGPRsForWavesPerEU: 38
; Occupancy: 16
; WaveLimiterHint : 1
; COMPUTE_PGM_RSRC2:SCRATCH_EN: 1
; COMPUTE_PGM_RSRC2:USER_SGPR: 14
; COMPUTE_PGM_RSRC2:TRAP_HANDLER: 0
; COMPUTE_PGM_RSRC2:TGID_X_EN: 1
; COMPUTE_PGM_RSRC2:TGID_Y_EN: 1
; COMPUTE_PGM_RSRC2:TGID_Z_EN: 0
; COMPUTE_PGM_RSRC2:TIDIG_COMP_CNT: 0
	.text
	.p2alignl 7, 3214868480
	.fill 96, 4, 3214868480
	.type	__hip_cuid_af0f6d8121202f20,@object ; @__hip_cuid_af0f6d8121202f20
	.section	.bss,"aw",@nobits
	.globl	__hip_cuid_af0f6d8121202f20
__hip_cuid_af0f6d8121202f20:
	.byte	0                               ; 0x0
	.size	__hip_cuid_af0f6d8121202f20, 1

	.ident	"AMD clang version 19.0.0git (https://github.com/RadeonOpenCompute/llvm-project roc-6.4.0 25133 c7fe45cf4b819c5991fe208aaa96edf142730f1d)"
	.section	".note.GNU-stack","",@progbits
	.addrsig
	.addrsig_sym __hip_cuid_af0f6d8121202f20
	.amdgpu_metadata
---
amdhsa.kernels:
  - .args:
      - .address_space:  global
        .offset:         0
        .size:           8
        .value_kind:     global_buffer
      - .address_space:  global
        .offset:         8
        .size:           8
        .value_kind:     global_buffer
      - .offset:         16
        .size:           4
        .value_kind:     by_value
      - .offset:         24
        .size:           4
        .value_kind:     hidden_block_count_x
      - .offset:         28
        .size:           4
        .value_kind:     hidden_block_count_y
      - .offset:         32
        .size:           4
        .value_kind:     hidden_block_count_z
      - .offset:         36
        .size:           2
        .value_kind:     hidden_group_size_x
      - .offset:         38
        .size:           2
        .value_kind:     hidden_group_size_y
      - .offset:         40
        .size:           2
        .value_kind:     hidden_group_size_z
      - .offset:         42
        .size:           2
        .value_kind:     hidden_remainder_x
      - .offset:         44
        .size:           2
        .value_kind:     hidden_remainder_y
      - .offset:         46
        .size:           2
        .value_kind:     hidden_remainder_z
      - .offset:         64
        .size:           8
        .value_kind:     hidden_global_offset_x
      - .offset:         72
        .size:           8
        .value_kind:     hidden_global_offset_y
      - .offset:         80
        .size:           8
        .value_kind:     hidden_global_offset_z
      - .offset:         88
        .size:           2
        .value_kind:     hidden_grid_dims
    .group_segment_fixed_size: 0
    .kernarg_segment_align: 8
    .kernarg_segment_size: 280
    .language:       OpenCL C
    .language_version:
      - 2
      - 0
    .max_flat_workgroup_size: 1024
    .name:           _Z17sobol_init_kernelILj32E19hiprandStateSobol32EvPT0_Pjj
    .private_segment_fixed_size: 0
    .sgpr_count:     52
    .sgpr_spill_count: 0
    .symbol:         _Z17sobol_init_kernelILj32E19hiprandStateSobol32EvPT0_Pjj.kd
    .uniform_work_group_size: 1
    .uses_dynamic_stack: false
    .vgpr_count:     34
    .vgpr_spill_count: 0
    .wavefront_size: 32
    .workgroup_processor_mode: 1
  - .args:
      - .address_space:  global
        .offset:         0
        .size:           8
        .value_kind:     global_buffer
      - .address_space:  global
        .offset:         8
        .size:           8
        .value_kind:     global_buffer
      - .offset:         16
        .size:           8
        .value_kind:     by_value
      - .offset:         24
        .size:           4
        .value_kind:     hidden_block_count_x
      - .offset:         28
        .size:           4
        .value_kind:     hidden_block_count_y
      - .offset:         32
        .size:           4
        .value_kind:     hidden_block_count_z
      - .offset:         36
        .size:           2
        .value_kind:     hidden_group_size_x
      - .offset:         38
        .size:           2
        .value_kind:     hidden_group_size_y
      - .offset:         40
        .size:           2
        .value_kind:     hidden_group_size_z
      - .offset:         42
        .size:           2
        .value_kind:     hidden_remainder_x
      - .offset:         44
        .size:           2
        .value_kind:     hidden_remainder_y
      - .offset:         46
        .size:           2
        .value_kind:     hidden_remainder_z
      - .offset:         64
        .size:           8
        .value_kind:     hidden_global_offset_x
      - .offset:         72
        .size:           8
        .value_kind:     hidden_global_offset_y
      - .offset:         80
        .size:           8
        .value_kind:     hidden_global_offset_z
      - .offset:         88
        .size:           2
        .value_kind:     hidden_grid_dims
    .group_segment_fixed_size: 0
    .kernarg_segment_align: 8
    .kernarg_segment_size: 280
    .language:       OpenCL C
    .language_version:
      - 2
      - 0
    .max_flat_workgroup_size: 1024
    .name:           _Z15generate_kernelI19hiprandStateSobol32EvPT_Pjm
    .private_segment_fixed_size: 140
    .sgpr_count:     18
    .sgpr_spill_count: 0
    .symbol:         _Z15generate_kernelI19hiprandStateSobol32EvPT_Pjm.kd
    .uniform_work_group_size: 1
    .uses_dynamic_stack: false
    .vgpr_count:     37
    .vgpr_spill_count: 0
    .wavefront_size: 32
    .workgroup_processor_mode: 1
  - .args:
      - .address_space:  global
        .offset:         0
        .size:           8
        .value_kind:     global_buffer
      - .address_space:  global
        .offset:         8
        .size:           8
        .value_kind:     global_buffer
      - .address_space:  global
        .offset:         16
        .size:           8
        .value_kind:     global_buffer
      - .offset:         24
        .size:           4
        .value_kind:     by_value
      - .offset:         32
        .size:           4
        .value_kind:     hidden_block_count_x
      - .offset:         36
        .size:           4
        .value_kind:     hidden_block_count_y
      - .offset:         40
        .size:           4
        .value_kind:     hidden_block_count_z
      - .offset:         44
        .size:           2
        .value_kind:     hidden_group_size_x
      - .offset:         46
        .size:           2
        .value_kind:     hidden_group_size_y
      - .offset:         48
        .size:           2
        .value_kind:     hidden_group_size_z
      - .offset:         50
        .size:           2
        .value_kind:     hidden_remainder_x
      - .offset:         52
        .size:           2
        .value_kind:     hidden_remainder_y
      - .offset:         54
        .size:           2
        .value_kind:     hidden_remainder_z
      - .offset:         72
        .size:           8
        .value_kind:     hidden_global_offset_x
      - .offset:         80
        .size:           8
        .value_kind:     hidden_global_offset_y
      - .offset:         88
        .size:           8
        .value_kind:     hidden_global_offset_z
      - .offset:         96
        .size:           2
        .value_kind:     hidden_grid_dims
    .group_segment_fixed_size: 0
    .kernarg_segment_align: 8
    .kernarg_segment_size: 288
    .language:       OpenCL C
    .language_version:
      - 2
      - 0
    .max_flat_workgroup_size: 1024
    .name:           _Z27scrambled_sobol_init_kernelILj32E28hiprandStateScrambledSobol32EvPT0_PjS3_j
    .private_segment_fixed_size: 0
    .sgpr_count:     45
    .sgpr_spill_count: 0
    .symbol:         _Z27scrambled_sobol_init_kernelILj32E28hiprandStateScrambledSobol32EvPT0_PjS3_j.kd
    .uniform_work_group_size: 1
    .uses_dynamic_stack: false
    .vgpr_count:     26
    .vgpr_spill_count: 0
    .wavefront_size: 32
    .workgroup_processor_mode: 1
  - .args:
      - .address_space:  global
        .offset:         0
        .size:           8
        .value_kind:     global_buffer
      - .address_space:  global
        .offset:         8
        .size:           8
        .value_kind:     global_buffer
      - .offset:         16
        .size:           8
        .value_kind:     by_value
      - .offset:         24
        .size:           4
        .value_kind:     hidden_block_count_x
      - .offset:         28
        .size:           4
        .value_kind:     hidden_block_count_y
      - .offset:         32
        .size:           4
        .value_kind:     hidden_block_count_z
      - .offset:         36
        .size:           2
        .value_kind:     hidden_group_size_x
      - .offset:         38
        .size:           2
        .value_kind:     hidden_group_size_y
      - .offset:         40
        .size:           2
        .value_kind:     hidden_group_size_z
      - .offset:         42
        .size:           2
        .value_kind:     hidden_remainder_x
      - .offset:         44
        .size:           2
        .value_kind:     hidden_remainder_y
      - .offset:         46
        .size:           2
        .value_kind:     hidden_remainder_z
      - .offset:         64
        .size:           8
        .value_kind:     hidden_global_offset_x
      - .offset:         72
        .size:           8
        .value_kind:     hidden_global_offset_y
      - .offset:         80
        .size:           8
        .value_kind:     hidden_global_offset_z
      - .offset:         88
        .size:           2
        .value_kind:     hidden_grid_dims
    .group_segment_fixed_size: 0
    .kernarg_segment_align: 8
    .kernarg_segment_size: 280
    .language:       OpenCL C
    .language_version:
      - 2
      - 0
    .max_flat_workgroup_size: 1024
    .name:           _Z15generate_kernelI28hiprandStateScrambledSobol32EvPT_Pjm
    .private_segment_fixed_size: 144
    .sgpr_count:     18
    .sgpr_spill_count: 0
    .symbol:         _Z15generate_kernelI28hiprandStateScrambledSobol32EvPT_Pjm.kd
    .uniform_work_group_size: 1
    .uses_dynamic_stack: false
    .vgpr_count:     38
    .vgpr_spill_count: 0
    .wavefront_size: 32
    .workgroup_processor_mode: 1
amdhsa.target:   amdgcn-amd-amdhsa--gfx1100
amdhsa.version:
  - 1
  - 2
...

	.end_amdgpu_metadata
